;; amdgpu-corpus repo=ROCm/rocFFT kind=compiled arch=gfx1030 opt=O3
	.text
	.amdgcn_target "amdgcn-amd-amdhsa--gfx1030"
	.amdhsa_code_object_version 6
	.protected	fft_rtc_fwd_len1056_factors_2_2_2_2_11_6_wgs_176_tpt_176_halfLds_half_ip_CI_sbrr_dirReg ; -- Begin function fft_rtc_fwd_len1056_factors_2_2_2_2_11_6_wgs_176_tpt_176_halfLds_half_ip_CI_sbrr_dirReg
	.globl	fft_rtc_fwd_len1056_factors_2_2_2_2_11_6_wgs_176_tpt_176_halfLds_half_ip_CI_sbrr_dirReg
	.p2align	8
	.type	fft_rtc_fwd_len1056_factors_2_2_2_2_11_6_wgs_176_tpt_176_halfLds_half_ip_CI_sbrr_dirReg,@function
fft_rtc_fwd_len1056_factors_2_2_2_2_11_6_wgs_176_tpt_176_halfLds_half_ip_CI_sbrr_dirReg: ; @fft_rtc_fwd_len1056_factors_2_2_2_2_11_6_wgs_176_tpt_176_halfLds_half_ip_CI_sbrr_dirReg
; %bb.0:
	s_clause 0x2
	s_load_dwordx2 s[14:15], s[4:5], 0x18
	s_load_dwordx4 s[8:11], s[4:5], 0x0
	s_load_dwordx2 s[2:3], s[4:5], 0x50
	v_mul_u32_u24_e32 v1, 0x175, v0
	v_mov_b32_e32 v3, 0
	v_add_nc_u32_sdwa v5, s6, v1 dst_sel:DWORD dst_unused:UNUSED_PAD src0_sel:DWORD src1_sel:WORD_1
	v_mov_b32_e32 v1, 0
	v_mov_b32_e32 v6, v3
	v_mov_b32_e32 v2, 0
	s_waitcnt lgkmcnt(0)
	s_load_dwordx2 s[12:13], s[14:15], 0x0
	v_cmp_lt_u64_e64 s0, s[10:11], 2
	s_and_b32 vcc_lo, exec_lo, s0
	s_cbranch_vccnz .LBB0_8
; %bb.1:
	s_load_dwordx2 s[0:1], s[4:5], 0x10
	v_mov_b32_e32 v1, 0
	s_add_u32 s6, s14, 8
	v_mov_b32_e32 v2, 0
	s_addc_u32 s7, s15, 0
	s_mov_b64 s[18:19], 1
	s_waitcnt lgkmcnt(0)
	s_add_u32 s16, s0, 8
	s_addc_u32 s17, s1, 0
.LBB0_2:                                ; =>This Inner Loop Header: Depth=1
	s_load_dwordx2 s[20:21], s[16:17], 0x0
                                        ; implicit-def: $vgpr7_vgpr8
	s_mov_b32 s0, exec_lo
	s_waitcnt lgkmcnt(0)
	v_or_b32_e32 v4, s21, v6
	v_cmpx_ne_u64_e32 0, v[3:4]
	s_xor_b32 s1, exec_lo, s0
	s_cbranch_execz .LBB0_4
; %bb.3:                                ;   in Loop: Header=BB0_2 Depth=1
	v_cvt_f32_u32_e32 v4, s20
	v_cvt_f32_u32_e32 v7, s21
	s_sub_u32 s0, 0, s20
	s_subb_u32 s22, 0, s21
	v_fmac_f32_e32 v4, 0x4f800000, v7
	v_rcp_f32_e32 v4, v4
	v_mul_f32_e32 v4, 0x5f7ffffc, v4
	v_mul_f32_e32 v7, 0x2f800000, v4
	v_trunc_f32_e32 v7, v7
	v_fmac_f32_e32 v4, 0xcf800000, v7
	v_cvt_u32_f32_e32 v7, v7
	v_cvt_u32_f32_e32 v4, v4
	v_mul_lo_u32 v8, s0, v7
	v_mul_hi_u32 v9, s0, v4
	v_mul_lo_u32 v10, s22, v4
	v_add_nc_u32_e32 v8, v9, v8
	v_mul_lo_u32 v9, s0, v4
	v_add_nc_u32_e32 v8, v8, v10
	v_mul_hi_u32 v10, v4, v9
	v_mul_lo_u32 v11, v4, v8
	v_mul_hi_u32 v12, v4, v8
	v_mul_hi_u32 v13, v7, v9
	v_mul_lo_u32 v9, v7, v9
	v_mul_hi_u32 v14, v7, v8
	v_mul_lo_u32 v8, v7, v8
	v_add_co_u32 v10, vcc_lo, v10, v11
	v_add_co_ci_u32_e32 v11, vcc_lo, 0, v12, vcc_lo
	v_add_co_u32 v9, vcc_lo, v10, v9
	v_add_co_ci_u32_e32 v9, vcc_lo, v11, v13, vcc_lo
	v_add_co_ci_u32_e32 v10, vcc_lo, 0, v14, vcc_lo
	v_add_co_u32 v8, vcc_lo, v9, v8
	v_add_co_ci_u32_e32 v9, vcc_lo, 0, v10, vcc_lo
	v_add_co_u32 v4, vcc_lo, v4, v8
	v_add_co_ci_u32_e32 v7, vcc_lo, v7, v9, vcc_lo
	v_mul_hi_u32 v8, s0, v4
	v_mul_lo_u32 v10, s22, v4
	v_mul_lo_u32 v9, s0, v7
	v_add_nc_u32_e32 v8, v8, v9
	v_mul_lo_u32 v9, s0, v4
	v_add_nc_u32_e32 v8, v8, v10
	v_mul_hi_u32 v10, v4, v9
	v_mul_lo_u32 v11, v4, v8
	v_mul_hi_u32 v12, v4, v8
	v_mul_hi_u32 v13, v7, v9
	v_mul_lo_u32 v9, v7, v9
	v_mul_hi_u32 v14, v7, v8
	v_mul_lo_u32 v8, v7, v8
	v_add_co_u32 v10, vcc_lo, v10, v11
	v_add_co_ci_u32_e32 v11, vcc_lo, 0, v12, vcc_lo
	v_add_co_u32 v9, vcc_lo, v10, v9
	v_add_co_ci_u32_e32 v9, vcc_lo, v11, v13, vcc_lo
	v_add_co_ci_u32_e32 v10, vcc_lo, 0, v14, vcc_lo
	v_add_co_u32 v8, vcc_lo, v9, v8
	v_add_co_ci_u32_e32 v9, vcc_lo, 0, v10, vcc_lo
	v_add_co_u32 v4, vcc_lo, v4, v8
	v_add_co_ci_u32_e32 v11, vcc_lo, v7, v9, vcc_lo
	v_mul_hi_u32 v13, v5, v4
	v_mad_u64_u32 v[9:10], null, v6, v4, 0
	v_mad_u64_u32 v[7:8], null, v5, v11, 0
	;; [unrolled: 1-line block ×3, first 2 shown]
	v_add_co_u32 v4, vcc_lo, v13, v7
	v_add_co_ci_u32_e32 v7, vcc_lo, 0, v8, vcc_lo
	v_add_co_u32 v4, vcc_lo, v4, v9
	v_add_co_ci_u32_e32 v4, vcc_lo, v7, v10, vcc_lo
	v_add_co_ci_u32_e32 v7, vcc_lo, 0, v12, vcc_lo
	v_add_co_u32 v4, vcc_lo, v4, v11
	v_add_co_ci_u32_e32 v9, vcc_lo, 0, v7, vcc_lo
	v_mul_lo_u32 v10, s21, v4
	v_mad_u64_u32 v[7:8], null, s20, v4, 0
	v_mul_lo_u32 v11, s20, v9
	v_sub_co_u32 v7, vcc_lo, v5, v7
	v_add3_u32 v8, v8, v11, v10
	v_sub_nc_u32_e32 v10, v6, v8
	v_subrev_co_ci_u32_e64 v10, s0, s21, v10, vcc_lo
	v_add_co_u32 v11, s0, v4, 2
	v_add_co_ci_u32_e64 v12, s0, 0, v9, s0
	v_sub_co_u32 v13, s0, v7, s20
	v_sub_co_ci_u32_e32 v8, vcc_lo, v6, v8, vcc_lo
	v_subrev_co_ci_u32_e64 v10, s0, 0, v10, s0
	v_cmp_le_u32_e32 vcc_lo, s20, v13
	v_cmp_eq_u32_e64 s0, s21, v8
	v_cndmask_b32_e64 v13, 0, -1, vcc_lo
	v_cmp_le_u32_e32 vcc_lo, s21, v10
	v_cndmask_b32_e64 v14, 0, -1, vcc_lo
	v_cmp_le_u32_e32 vcc_lo, s20, v7
	;; [unrolled: 2-line block ×3, first 2 shown]
	v_cndmask_b32_e64 v15, 0, -1, vcc_lo
	v_cmp_eq_u32_e32 vcc_lo, s21, v10
	v_cndmask_b32_e64 v7, v15, v7, s0
	v_cndmask_b32_e32 v10, v14, v13, vcc_lo
	v_add_co_u32 v13, vcc_lo, v4, 1
	v_add_co_ci_u32_e32 v14, vcc_lo, 0, v9, vcc_lo
	v_cmp_ne_u32_e32 vcc_lo, 0, v10
	v_cndmask_b32_e32 v8, v14, v12, vcc_lo
	v_cndmask_b32_e32 v10, v13, v11, vcc_lo
	v_cmp_ne_u32_e32 vcc_lo, 0, v7
	v_cndmask_b32_e32 v8, v9, v8, vcc_lo
	v_cndmask_b32_e32 v7, v4, v10, vcc_lo
.LBB0_4:                                ;   in Loop: Header=BB0_2 Depth=1
	s_andn2_saveexec_b32 s0, s1
	s_cbranch_execz .LBB0_6
; %bb.5:                                ;   in Loop: Header=BB0_2 Depth=1
	v_cvt_f32_u32_e32 v4, s20
	s_sub_i32 s1, 0, s20
	v_rcp_iflag_f32_e32 v4, v4
	v_mul_f32_e32 v4, 0x4f7ffffe, v4
	v_cvt_u32_f32_e32 v4, v4
	v_mul_lo_u32 v7, s1, v4
	v_mul_hi_u32 v7, v4, v7
	v_add_nc_u32_e32 v4, v4, v7
	v_mul_hi_u32 v4, v5, v4
	v_mul_lo_u32 v7, v4, s20
	v_add_nc_u32_e32 v8, 1, v4
	v_sub_nc_u32_e32 v7, v5, v7
	v_subrev_nc_u32_e32 v9, s20, v7
	v_cmp_le_u32_e32 vcc_lo, s20, v7
	v_cndmask_b32_e32 v7, v7, v9, vcc_lo
	v_cndmask_b32_e32 v4, v4, v8, vcc_lo
	v_cmp_le_u32_e32 vcc_lo, s20, v7
	v_add_nc_u32_e32 v8, 1, v4
	v_cndmask_b32_e32 v7, v4, v8, vcc_lo
	v_mov_b32_e32 v8, v3
.LBB0_6:                                ;   in Loop: Header=BB0_2 Depth=1
	s_or_b32 exec_lo, exec_lo, s0
	s_load_dwordx2 s[0:1], s[6:7], 0x0
	v_mul_lo_u32 v4, v8, s20
	v_mul_lo_u32 v11, v7, s21
	v_mad_u64_u32 v[9:10], null, v7, s20, 0
	s_add_u32 s18, s18, 1
	s_addc_u32 s19, s19, 0
	s_add_u32 s6, s6, 8
	s_addc_u32 s7, s7, 0
	;; [unrolled: 2-line block ×3, first 2 shown]
	v_add3_u32 v4, v10, v11, v4
	v_sub_co_u32 v5, vcc_lo, v5, v9
	v_sub_co_ci_u32_e32 v4, vcc_lo, v6, v4, vcc_lo
	s_waitcnt lgkmcnt(0)
	v_mul_lo_u32 v6, s1, v5
	v_mul_lo_u32 v4, s0, v4
	v_mad_u64_u32 v[1:2], null, s0, v5, v[1:2]
	v_cmp_ge_u64_e64 s0, s[18:19], s[10:11]
	s_and_b32 vcc_lo, exec_lo, s0
	v_add3_u32 v2, v6, v2, v4
	s_cbranch_vccnz .LBB0_9
; %bb.7:                                ;   in Loop: Header=BB0_2 Depth=1
	v_mov_b32_e32 v5, v7
	v_mov_b32_e32 v6, v8
	s_branch .LBB0_2
.LBB0_8:
	v_mov_b32_e32 v8, v6
	v_mov_b32_e32 v7, v5
.LBB0_9:
	s_lshl_b64 s[0:1], s[10:11], 3
	v_mul_hi_u32 v3, 0x1745d18, v0
	s_add_u32 s0, s14, s0
	s_addc_u32 s1, s15, s1
	s_load_dwordx2 s[0:1], s[0:1], 0x0
	s_load_dwordx2 s[4:5], s[4:5], 0x20
	v_mul_u32_u24_e32 v3, 0xb0, v3
	v_sub_nc_u32_e32 v4, v0, v3
	v_add_nc_u32_e32 v9, 0xb0, v4
	s_waitcnt lgkmcnt(0)
	v_mul_lo_u32 v5, s0, v8
	v_mul_lo_u32 v6, s1, v7
	v_mad_u64_u32 v[1:2], null, s0, v7, v[1:2]
	v_cmp_gt_u64_e32 vcc_lo, s[4:5], v[7:8]
	v_cmp_le_u64_e64 s0, s[4:5], v[7:8]
	v_add_nc_u32_e32 v7, 0x160, v4
                                        ; implicit-def: $sgpr4
	v_add3_u32 v2, v6, v2, v5
	s_and_saveexec_b32 s1, s0
	s_xor_b32 s0, exec_lo, s1
; %bb.10:
	v_add_nc_u32_e32 v9, 0xb0, v4
	v_add_nc_u32_e32 v7, 0x160, v4
	s_mov_b32 s4, 0
; %bb.11:
	s_or_saveexec_b32 s1, s0
	v_lshlrev_b64 v[0:1], 2, v[1:2]
	v_mov_b32_e32 v3, s4
	v_mov_b32_e32 v6, s4
	v_mov_b32_e32 v2, s4
	v_mov_b32_e32 v5, s4
                                        ; implicit-def: $vgpr12
                                        ; implicit-def: $vgpr8
                                        ; implicit-def: $vgpr13
                                        ; implicit-def: $vgpr11
                                        ; implicit-def: $vgpr14
                                        ; implicit-def: $vgpr10
	s_xor_b32 exec_lo, exec_lo, s1
	s_cbranch_execz .LBB0_13
; %bb.12:
	v_add_nc_u32_e32 v8, 0x210, v4
	v_mad_u64_u32 v[2:3], null, s12, v4, 0
	v_add_nc_u32_e32 v24, 0x2c0, v4
	v_mad_u64_u32 v[10:11], null, s12, v9, 0
	v_mad_u64_u32 v[5:6], null, s12, v8, 0
	v_add_nc_u32_e32 v25, 0x370, v4
	v_mad_u64_u32 v[12:13], null, s12, v24, 0
	v_mad_u64_u32 v[17:18], null, s13, v4, v[3:4]
	v_mov_b32_e32 v3, v11
	v_mad_u64_u32 v[14:15], null, s13, v8, v[6:7]
	v_mad_u64_u32 v[15:16], null, s12, v25, 0
	;; [unrolled: 1-line block ×4, first 2 shown]
	v_mov_b32_e32 v8, v13
	v_mov_b32_e32 v6, v14
	;; [unrolled: 1-line block ×4, first 2 shown]
	v_add_co_u32 v22, s0, s2, v0
	v_mad_u64_u32 v[16:17], null, s13, v24, v[8:9]
	v_lshlrev_b64 v[5:6], 2, v[5:6]
	v_mov_b32_e32 v11, v20
	v_mov_b32_e32 v8, v19
	v_mad_u64_u32 v[19:20], null, s13, v25, v[13:14]
	v_add_co_ci_u32_e64 v23, s0, s3, v1, s0
	v_mov_b32_e32 v13, v16
	v_add_co_u32 v5, s0, v22, v5
	v_mad_u64_u32 v[20:21], null, s13, v7, v[8:9]
	v_lshlrev_b64 v[2:3], 2, v[2:3]
	v_add_co_ci_u32_e64 v6, s0, v23, v6, s0
	v_mov_b32_e32 v16, v19
	v_lshlrev_b64 v[12:13], 2, v[12:13]
	v_add_co_u32 v2, s0, v22, v2
	global_load_dword v8, v[5:6], off
	v_lshlrev_b64 v[5:6], 2, v[10:11]
	v_lshlrev_b64 v[10:11], 2, v[15:16]
	v_mov_b32_e32 v19, v20
	v_add_co_ci_u32_e64 v3, s0, v23, v3, s0
	v_add_co_u32 v12, s0, v22, v12
	v_add_co_ci_u32_e64 v13, s0, v23, v13, s0
	v_lshlrev_b64 v[14:15], 2, v[18:19]
	v_add_co_u32 v16, s0, v22, v10
	v_add_co_ci_u32_e64 v17, s0, v23, v11, s0
	v_add_co_u32 v18, s0, v22, v5
	v_add_co_ci_u32_e64 v19, s0, v23, v6, s0
	s_clause 0x1
	global_load_dword v11, v[12:13], off
	global_load_dword v10, v[16:17], off
	v_add_co_u32 v12, s0, v22, v14
	v_add_co_ci_u32_e64 v13, s0, v23, v15, s0
	s_clause 0x2
	global_load_dword v6, v[2:3], off
	global_load_dword v2, v[18:19], off
	;; [unrolled: 1-line block ×3, first 2 shown]
	v_mov_b32_e32 v3, v4
	s_waitcnt vmcnt(5)
	v_lshrrev_b32_e32 v12, 16, v8
	s_waitcnt vmcnt(4)
	v_lshrrev_b32_e32 v13, 16, v11
	;; [unrolled: 2-line block ×3, first 2 shown]
.LBB0_13:
	s_or_b32 exec_lo, exec_lo, s1
	s_waitcnt vmcnt(2)
	v_sub_f16_e32 v8, v6, v8
	v_lshrrev_b32_e32 v15, 16, v6
	s_waitcnt vmcnt(1)
	v_sub_f16_e32 v11, v2, v11
	v_lshrrev_b32_e32 v16, 16, v2
	s_waitcnt vmcnt(0)
	v_sub_f16_e32 v10, v5, v10
	v_fma_f16 v6, v6, 2.0, -v8
	v_lshrrev_b32_e32 v17, 16, v5
	v_sub_f16_e32 v12, v15, v12
	v_fma_f16 v2, v2, 2.0, -v11
	v_sub_f16_e32 v13, v16, v13
	v_lshl_add_u32 v21, v4, 2, 0
	v_pack_b32_f16 v8, v6, v8
	v_fma_f16 v18, v5, 2.0, -v10
	v_sub_f16_e32 v14, v17, v14
	v_fma_f16 v15, v15, 2.0, -v12
	v_lshlrev_b32_e32 v20, 1, v4
	v_lshl_add_u32 v6, v9, 2, 0
	v_pack_b32_f16 v2, v2, v11
	v_fma_f16 v16, v16, 2.0, -v13
	v_lshl_add_u32 v5, v7, 2, 0
	ds_write_b32 v21, v8
	v_lshlrev_b32_e32 v8, 1, v9
	v_lshlrev_b32_e32 v9, 1, v7
	v_pack_b32_f16 v10, v18, v10
	v_fma_f16 v17, v17, 2.0, -v14
	ds_write_b32 v6, v2
	v_sub_nc_u32_e32 v2, v21, v20
	v_pack_b32_f16 v12, v15, v12
	v_and_b32_e32 v15, 1, v4
	v_pack_b32_f16 v13, v16, v13
	v_sub_nc_u32_e32 v7, v5, v9
	ds_write_b32 v5, v10
	v_sub_nc_u32_e32 v10, v6, v8
	s_waitcnt lgkmcnt(0)
	s_barrier
	buffer_gl0_inv
	ds_read_u16 v11, v2
	ds_read_u16 v18, v2 offset:1056
	ds_read_u16 v19, v2 offset:1408
	ds_read_u16 v22, v7
	ds_read_u16 v23, v10
	ds_read_u16 v24, v2 offset:1760
	s_waitcnt lgkmcnt(0)
	s_barrier
	v_pack_b32_f16 v14, v17, v14
	buffer_gl0_inv
	ds_write_b32 v21, v12
	ds_write_b32 v6, v13
	v_lshlrev_b32_e32 v12, 2, v15
	v_and_b32_e32 v26, 3, v4
	ds_write_b32 v5, v14
	s_waitcnt lgkmcnt(0)
	s_barrier
	buffer_gl0_inv
	global_load_dword v12, v12, s[8:9]
	ds_read_u16 v13, v2 offset:1056
	ds_read_u16 v14, v2 offset:1408
	ds_read_u16 v16, v7
	ds_read_u16 v17, v2 offset:1760
	ds_read_u16 v25, v10
	ds_read_u16 v29, v2
	v_and_or_b32 v27, 0x1fc, v20, v15
	v_and_or_b32 v28, 0x3fc, v8, v15
	;; [unrolled: 1-line block ×3, first 2 shown]
	v_lshlrev_b32_e32 v30, 2, v26
	s_waitcnt vmcnt(0) lgkmcnt(0)
	v_lshl_add_u32 v27, v27, 1, 0
	v_lshl_add_u32 v28, v28, 1, 0
	;; [unrolled: 1-line block ×3, first 2 shown]
	s_barrier
	buffer_gl0_inv
	v_cmp_gt_u32_e64 s0, 0x60, v4
	v_mul_f16_sdwa v32, v18, v12 dst_sel:DWORD dst_unused:UNUSED_PAD src0_sel:DWORD src1_sel:WORD_1
	v_mul_f16_sdwa v31, v13, v12 dst_sel:DWORD dst_unused:UNUSED_PAD src0_sel:DWORD src1_sel:WORD_1
	;; [unrolled: 1-line block ×6, first 2 shown]
	v_fmac_f16_e32 v32, v13, v12
	v_fma_f16 v18, v18, v12, -v31
	v_fma_f16 v13, v19, v12, -v33
	v_fmac_f16_e32 v34, v14, v12
	v_fma_f16 v14, v24, v12, -v35
	v_fmac_f16_e32 v36, v17, v12
	v_sub_f16_e32 v17, v29, v32
	v_sub_f16_e32 v12, v11, v18
	;; [unrolled: 1-line block ×6, first 2 shown]
	v_fma_f16 v24, v29, 2.0, -v17
	v_fma_f16 v11, v11, 2.0, -v12
	;; [unrolled: 1-line block ×6, first 2 shown]
	ds_write_b16 v27, v12 offset:4
	ds_write_b16 v27, v11
	ds_write_b16 v28, v23
	ds_write_b16 v28, v13 offset:4
	ds_write_b16 v15, v22
	ds_write_b16 v15, v14 offset:4
	s_waitcnt lgkmcnt(0)
	s_barrier
	buffer_gl0_inv
	ds_read_u16 v11, v2
	ds_read_u16 v12, v2 offset:1056
	ds_read_u16 v13, v2 offset:1408
	ds_read_u16 v14, v7
	ds_read_u16 v22, v10
	ds_read_u16 v23, v2 offset:1760
	s_waitcnt lgkmcnt(0)
	s_barrier
	buffer_gl0_inv
	ds_write_b16 v27, v24
	ds_write_b16 v27, v17 offset:4
	ds_write_b16 v28, v25
	ds_write_b16 v28, v18 offset:4
	;; [unrolled: 2-line block ×3, first 2 shown]
	s_waitcnt lgkmcnt(0)
	s_barrier
	buffer_gl0_inv
	global_load_dword v15, v30, s[8:9] offset:8
	ds_read_u16 v16, v2 offset:1056
	ds_read_u16 v17, v2 offset:1408
	ds_read_u16 v18, v7
	ds_read_u16 v19, v2 offset:1760
	ds_read_u16 v24, v10
	ds_read_u16 v29, v2
	v_and_b32_e32 v25, 7, v4
	v_and_or_b32 v27, 0x1f8, v20, v26
	v_and_or_b32 v28, 0x3f8, v8, v26
	;; [unrolled: 1-line block ×3, first 2 shown]
	s_waitcnt vmcnt(0) lgkmcnt(0)
	v_lshlrev_b32_e32 v30, 2, v25
	v_lshl_add_u32 v27, v27, 1, 0
	v_lshl_add_u32 v28, v28, 1, 0
	;; [unrolled: 1-line block ×3, first 2 shown]
	s_barrier
	buffer_gl0_inv
	v_mul_f16_sdwa v32, v12, v15 dst_sel:DWORD dst_unused:UNUSED_PAD src0_sel:DWORD src1_sel:WORD_1
	v_mul_f16_sdwa v31, v16, v15 dst_sel:DWORD dst_unused:UNUSED_PAD src0_sel:DWORD src1_sel:WORD_1
	;; [unrolled: 1-line block ×6, first 2 shown]
	v_fmac_f16_e32 v32, v16, v15
	v_fma_f16 v12, v12, v15, -v31
	v_fma_f16 v13, v13, v15, -v33
	v_fmac_f16_e32 v34, v17, v15
	v_fma_f16 v16, v23, v15, -v35
	v_fmac_f16_e32 v36, v19, v15
	v_sub_f16_e32 v17, v29, v32
	v_sub_f16_e32 v12, v11, v12
	;; [unrolled: 1-line block ×6, first 2 shown]
	v_fma_f16 v29, v29, 2.0, -v17
	v_fma_f16 v11, v11, 2.0, -v12
	;; [unrolled: 1-line block ×6, first 2 shown]
	ds_write_b16 v27, v12 offset:8
	ds_write_b16 v27, v11
	ds_write_b16 v28, v16
	ds_write_b16 v28, v13 offset:8
	ds_write_b16 v26, v14
	ds_write_b16 v26, v15 offset:8
	s_waitcnt lgkmcnt(0)
	s_barrier
	buffer_gl0_inv
	ds_read_u16 v14, v2
	ds_read_u16 v16, v2 offset:1056
	ds_read_u16 v11, v2 offset:1408
	ds_read_u16 v31, v7
	ds_read_u16 v32, v10
	ds_read_u16 v15, v2 offset:1760
	s_waitcnt lgkmcnt(0)
	s_barrier
	buffer_gl0_inv
	ds_write_b16 v27, v29
	ds_write_b16 v27, v17 offset:8
	ds_write_b16 v28, v22
	ds_write_b16 v28, v19 offset:8
	;; [unrolled: 2-line block ×3, first 2 shown]
	s_waitcnt lgkmcnt(0)
	s_barrier
	buffer_gl0_inv
	global_load_dword v22, v30, s[8:9] offset:24
	ds_read_u16 v23, v2 offset:1056
	ds_read_u16 v24, v2 offset:1408
	ds_read_u16 v7, v7
	ds_read_u16 v26, v2 offset:1760
	ds_read_u16 v18, v10
	ds_read_u16 v19, v2
	v_and_or_b32 v10, 0x1f0, v20, v25
	v_sub_nc_u32_e32 v2, 0, v20
	v_and_or_b32 v12, 0x3f0, v8, v25
	v_and_or_b32 v13, 0x7f0, v9, v25
	s_waitcnt vmcnt(0) lgkmcnt(0)
	v_lshl_add_u32 v27, v10, 1, 0
	v_add_nc_u32_e32 v2, v21, v2
	v_lshl_add_u32 v28, v12, 1, 0
	v_lshl_add_u32 v29, v13, 1, 0
	s_barrier
	buffer_gl0_inv
                                        ; implicit-def: $vgpr33
                                        ; implicit-def: $vgpr25
                                        ; implicit-def: $vgpr21
                                        ; implicit-def: $vgpr34
	v_mul_f16_sdwa v17, v23, v22 dst_sel:DWORD dst_unused:UNUSED_PAD src0_sel:DWORD src1_sel:WORD_1
	v_mul_f16_sdwa v20, v24, v22 dst_sel:DWORD dst_unused:UNUSED_PAD src0_sel:DWORD src1_sel:WORD_1
	;; [unrolled: 1-line block ×3, first 2 shown]
	v_fma_f16 v12, v16, v22, -v17
	v_fma_f16 v17, v11, v22, -v20
	;; [unrolled: 1-line block ×3, first 2 shown]
	v_sub_f16_e32 v13, v14, v12
	v_sub_f16_e32 v10, v32, v17
	;; [unrolled: 1-line block ×3, first 2 shown]
	v_fma_f16 v14, v14, 2.0, -v13
	v_fma_f16 v17, v32, 2.0, -v10
	;; [unrolled: 1-line block ×3, first 2 shown]
	ds_write_b16 v27, v13 offset:16
	ds_write_b16 v27, v14
	ds_write_b16 v28, v17
	ds_write_b16 v28, v10 offset:16
	ds_write_b16 v29, v20
	ds_write_b16 v29, v12 offset:16
	s_waitcnt lgkmcnt(0)
	s_barrier
	buffer_gl0_inv
                                        ; implicit-def: $vgpr31
	s_and_saveexec_b32 s1, s0
	s_cbranch_execz .LBB0_15
; %bb.14:
	ds_read_u16 v14, v2
	ds_read_u16 v13, v2 offset:192
	ds_read_u16 v17, v2 offset:384
	;; [unrolled: 1-line block ×10, first 2 shown]
.LBB0_15:
	s_or_b32 exec_lo, exec_lo, s1
	v_mul_f16_sdwa v16, v16, v22 dst_sel:DWORD dst_unused:UNUSED_PAD src0_sel:DWORD src1_sel:WORD_1
	v_mul_f16_sdwa v11, v11, v22 dst_sel:DWORD dst_unused:UNUSED_PAD src0_sel:DWORD src1_sel:WORD_1
	;; [unrolled: 1-line block ×3, first 2 shown]
	s_waitcnt lgkmcnt(0)
	s_barrier
	v_fmac_f16_e32 v16, v23, v22
	v_fmac_f16_e32 v11, v24, v22
	;; [unrolled: 1-line block ×3, first 2 shown]
	buffer_gl0_inv
                                        ; implicit-def: $vgpr39
                                        ; implicit-def: $vgpr40
                                        ; implicit-def: $vgpr41
                                        ; implicit-def: $vgpr43
                                        ; implicit-def: $vgpr42
	v_sub_f16_e32 v24, v19, v16
	v_sub_f16_e32 v35, v18, v11
	v_sub_f16_e32 v36, v7, v15
	v_fma_f16 v11, v19, 2.0, -v24
	v_fma_f16 v38, v18, 2.0, -v35
	;; [unrolled: 1-line block ×3, first 2 shown]
	ds_write_b16 v27, v24 offset:16
	ds_write_b16 v27, v11
	ds_write_b16 v28, v38
	ds_write_b16 v28, v35 offset:16
	ds_write_b16 v29, v37
	ds_write_b16 v29, v36 offset:16
	s_waitcnt lgkmcnt(0)
	s_barrier
	buffer_gl0_inv
	s_and_saveexec_b32 s1, s0
	s_cbranch_execz .LBB0_17
; %bb.16:
	v_lshl_add_u32 v7, v4, 1, 0
	ds_read_u16 v37, v7 offset:768
	ds_read_u16 v24, v2 offset:192
	;; [unrolled: 1-line block ×6, first 2 shown]
	ds_read_u16 v11, v2
	ds_read_u16 v41, v7 offset:1536
	ds_read_u16 v43, v2 offset:1344
	ds_read_u16 v40, v2 offset:1728
	ds_read_u16 v39, v2 offset:1920
.LBB0_17:
	s_or_b32 exec_lo, exec_lo, s1
	v_and_b32_e32 v7, 15, v4
	v_sub_nc_u32_e32 v16, 0, v8
	v_mul_u32_u24_e32 v15, 10, v7
	v_lshlrev_b32_e32 v15, 2, v15
	s_clause 0x2
	global_load_dwordx4 v[44:47], v15, s[8:9] offset:56
	global_load_dwordx4 v[48:51], v15, s[8:9] offset:72
	global_load_dwordx2 v[52:53], v15, s[8:9] offset:88
	v_sub_nc_u32_e32 v15, 0, v9
	s_waitcnt vmcnt(0) lgkmcnt(0)
	s_barrier
	buffer_gl0_inv
	v_mul_f16_sdwa v29, v24, v44 dst_sel:DWORD dst_unused:UNUSED_PAD src0_sel:DWORD src1_sel:WORD_1
	v_mul_f16_sdwa v30, v13, v44 dst_sel:DWORD dst_unused:UNUSED_PAD src0_sel:DWORD src1_sel:WORD_1
	;; [unrolled: 1-line block ×20, first 2 shown]
	v_fma_f16 v32, v13, v44, -v29
	v_fmac_f16_e32 v30, v24, v44
	v_fma_f16 v29, v17, v45, -v54
	v_fmac_f16_e32 v28, v38, v45
	;; [unrolled: 2-line block ×10, first 2 shown]
	v_lshrrev_b32_e32 v10, 4, v4
	s_and_saveexec_b32 s1, s0
	s_cbranch_execz .LBB0_19
; %bb.18:
	v_sub_f16_e32 v34, v30, v27
	v_add_f16_e32 v33, v32, v35
	v_sub_f16_e32 v37, v28, v26
	v_add_f16_e32 v36, v29, v31
	v_sub_f16_e32 v39, v22, v23
	v_mul_f16_e32 v44, 0xb482, v34
	v_add_f16_e32 v38, v24, v25
	v_mul_f16_e32 v45, 0x3853, v37
	v_sub_f16_e32 v41, v18, v19
	v_mul_f16_e32 v46, 0xba0c, v39
	v_fmamk_f16 v49, v33, 0xbbad, v44
	v_add_f16_e32 v40, v20, v21
	v_fmamk_f16 v52, v36, 0x3abb, v45
	v_sub_f16_e32 v43, v8, v9
	v_mul_f16_e32 v47, 0x3b47, v41
	v_add_f16_e32 v49, v14, v49
	v_fmamk_f16 v53, v38, 0xb93d, v46
	v_fma_f16 v44, v33, 0xbbad, -v44
	v_add_f16_e32 v42, v12, v13
	v_mul_f16_e32 v48, 0xbbeb, v43
	v_add_f16_e32 v49, v52, v49
	v_mul_f16_e32 v50, 0xba0c, v34
	v_fmamk_f16 v54, v40, 0x36a6, v47
	v_fma_f16 v45, v36, 0x3abb, -v45
	v_add_f16_e32 v44, v14, v44
	v_add_f16_e32 v49, v53, v49
	v_mul_f16_e32 v51, 0x3beb, v37
	v_fmamk_f16 v52, v42, 0xb08e, v48
	v_fma_f16 v46, v38, 0xb93d, -v46
	v_fmamk_f16 v53, v33, 0xb93d, v50
	v_add_f16_e32 v44, v45, v44
	v_add_f16_e32 v45, v54, v49
	v_fma_f16 v47, v40, 0x36a6, -v47
	v_mul_f16_e32 v54, 0x3482, v37
	v_add_f16_e32 v49, v14, v53
	v_add_f16_e32 v44, v46, v44
	;; [unrolled: 1-line block ×3, first 2 shown]
	v_fmamk_f16 v46, v36, 0xb08e, v51
	v_mul_f16_e32 v52, 0xb853, v39
	v_mul_f16_e32 v53, 0xbbeb, v34
	v_add_f16_e32 v44, v47, v44
	v_fma_f16 v47, v42, 0xb08e, -v48
	v_fma_f16 v48, v33, 0xb93d, -v50
	v_add_f16_e32 v46, v46, v49
	v_fmamk_f16 v49, v38, 0x3abb, v52
	v_mul_f16_e32 v50, 0xb482, v41
	v_add_f16_e32 v44, v47, v44
	v_add_f16_e32 v47, v14, v48
	v_fma_f16 v48, v36, 0xb08e, -v51
	v_add_f16_e32 v46, v49, v46
	v_fmamk_f16 v49, v40, 0xbbad, v50
	v_mul_f16_e32 v51, 0x3b47, v43
	v_mul_f16_e32 v55, 0xbb47, v34
	v_add_f16_e32 v47, v48, v47
	v_fma_f16 v48, v38, 0x3abb, -v52
	v_add_f16_e32 v46, v49, v46
	v_fmamk_f16 v49, v42, 0x36a6, v51
	v_fmamk_f16 v52, v33, 0xb08e, v53
	v_add_f16_e32 v17, v14, v32
	v_add_f16_e32 v47, v48, v47
	v_fma_f16 v48, v40, 0xbbad, -v50
	v_add_f16_e32 v46, v49, v46
	v_add_f16_e32 v49, v14, v52
	v_fmamk_f16 v50, v36, 0xbbad, v54
	v_mul_f16_e32 v52, 0x3b47, v39
	v_add_f16_e32 v47, v48, v47
	v_fma_f16 v48, v42, 0x36a6, -v51
	v_fma_f16 v51, v33, 0xb08e, -v53
	v_add_f16_e32 v49, v50, v49
	v_fmamk_f16 v50, v38, 0x36a6, v52
	v_mul_f16_e32 v53, 0xb853, v41
	v_add_f16_e32 v47, v48, v47
	v_add_f16_e32 v48, v14, v51
	v_fma_f16 v51, v36, 0xbbad, -v54
	v_add_f16_e32 v49, v50, v49
	v_fmamk_f16 v50, v40, 0x3abb, v53
	v_mul_f16_e32 v54, 0xba0c, v43
	v_mul_f16_e32 v56, 0xba0c, v37
	v_add_f16_e32 v48, v51, v48
	v_fma_f16 v51, v38, 0x36a6, -v52
	v_add_f16_e32 v49, v50, v49
	v_fmamk_f16 v50, v42, 0xb93d, v54
	v_fmamk_f16 v52, v33, 0x36a6, v55
	v_add_f16_e32 v17, v17, v29
	v_add_f16_e32 v48, v51, v48
	v_fma_f16 v51, v40, 0x3abb, -v53
	v_add_f16_e32 v49, v50, v49
	v_add_f16_e32 v50, v14, v52
	v_fmamk_f16 v52, v36, 0xb93d, v56
	v_mul_f16_e32 v53, 0x3482, v39
	v_add_f16_e32 v17, v17, v24
	v_add_f16_e32 v48, v51, v48
	v_fma_f16 v51, v42, 0xb93d, -v54
	v_fma_f16 v54, v33, 0x36a6, -v55
	v_add_f16_e32 v50, v52, v50
	v_fmamk_f16 v52, v38, 0xbbad, v53
	v_mul_f16_e32 v55, 0x3beb, v41
	v_add_f16_e32 v17, v17, v20
	v_mul_f16_e32 v34, 0xb853, v34
	v_mul_f16_e32 v37, 0xbb47, v37
	v_add_f16_e32 v50, v52, v50
	v_fmamk_f16 v52, v40, 0xb08e, v55
	v_add_f16_e32 v17, v17, v12
	v_mul_f16_e32 v39, 0xbbeb, v39
	v_add_f16_e32 v48, v51, v48
	v_add_f16_e32 v51, v14, v54
	v_add_f16_e32 v50, v52, v50
	v_fma_f16 v52, v33, 0x3abb, -v34
	v_add_f16_e32 v17, v17, v13
	v_fmamk_f16 v33, v33, 0x3abb, v34
	v_fma_f16 v54, v36, 0xb93d, -v56
	v_fma_f16 v53, v38, 0xbbad, -v53
	v_add_f16_e32 v34, v14, v52
	v_fma_f16 v52, v36, 0x36a6, -v37
	v_add_f16_e32 v17, v17, v21
	v_add_f16_e32 v14, v14, v33
	v_fmamk_f16 v33, v36, 0x36a6, v37
	v_fma_f16 v36, v38, 0xb08e, -v39
	v_add_f16_e32 v34, v52, v34
	v_mul_f16_e32 v37, 0xba0c, v41
	v_add_f16_e32 v51, v54, v51
	v_add_f16_e32 v17, v17, v25
	;; [unrolled: 1-line block ×3, first 2 shown]
	v_fmamk_f16 v33, v38, 0xb08e, v39
	v_add_f16_e32 v34, v36, v34
	v_fma_f16 v36, v40, 0xb93d, -v37
	v_mul_u32_u24_e32 v38, 0xb0, v10
	v_mul_f16_e32 v39, 0xb482, v43
	v_mul_f16_e32 v56, 0x3853, v43
	v_add_f16_e32 v51, v53, v51
	v_fma_f16 v53, v40, 0xb08e, -v55
	v_add_f16_e32 v17, v17, v31
	v_add_f16_e32 v14, v33, v14
	v_fmamk_f16 v33, v40, 0xb93d, v37
	v_add_f16_e32 v34, v36, v34
	v_or_b32_e32 v36, v38, v7
	v_fma_f16 v37, v42, 0xbbad, -v39
	v_add_f16_e32 v41, v53, v51
	v_fma_f16 v38, v42, 0x3abb, -v56
	v_add_f16_e32 v17, v17, v35
	v_fmamk_f16 v54, v42, 0x3abb, v56
	v_add_f16_e32 v14, v33, v14
	v_fmamk_f16 v33, v42, 0xbbad, v39
	v_lshl_add_u32 v36, v36, 1, 0
	v_add_f16_e32 v34, v37, v34
	v_add_f16_e32 v37, v38, v41
	;; [unrolled: 1-line block ×4, first 2 shown]
	ds_write_b16 v36, v17
	ds_write_b16 v36, v34 offset:32
	ds_write_b16 v36, v37 offset:64
	;; [unrolled: 1-line block ×10, first 2 shown]
.LBB0_19:
	s_or_b32 exec_lo, exec_lo, s1
	v_add_nc_u32_e32 v33, v6, v16
	s_waitcnt lgkmcnt(0)
	s_barrier
	buffer_gl0_inv
	v_add_nc_u32_e32 v34, v5, v15
	ds_read_u16 v6, v33
	ds_read_u16 v14, v2 offset:1056
	ds_read_u16 v16, v2 offset:1408
	;; [unrolled: 1-line block ×3, first 2 shown]
	ds_read_u16 v5, v2
	ds_read_u16 v17, v34
	s_waitcnt lgkmcnt(0)
	s_barrier
	buffer_gl0_inv
	s_and_saveexec_b32 s1, s0
	s_cbranch_execz .LBB0_21
; %bb.20:
	v_add_f16_e32 v36, v11, v30
	v_sub_f16_e32 v32, v32, v35
	v_add_f16_e32 v35, v28, v26
	v_add_f16_e32 v30, v30, v27
	v_sub_f16_e32 v29, v29, v31
	v_add_f16_e32 v28, v36, v28
	v_mul_f16_e32 v36, 0xbb47, v32
	v_mul_f16_e32 v37, 0xbbeb, v32
	;; [unrolled: 1-line block ×4, first 2 shown]
	v_add_f16_e32 v28, v28, v22
	v_fmamk_f16 v43, v30, 0x36a6, v36
	v_fma_f16 v36, v30, 0x36a6, -v36
	v_mul_f16_e32 v38, 0xba0c, v32
	v_mul_f16_e32 v32, 0xb482, v32
	v_add_f16_e32 v28, v28, v18
	v_mul_f16_e32 v41, 0x3482, v29
	v_fmamk_f16 v44, v30, 0xb08e, v37
	v_fma_f16 v37, v30, 0xb08e, -v37
	v_add_f16_e32 v36, v11, v36
	v_add_f16_e32 v28, v28, v8
	v_mul_f16_e32 v39, 0xbb47, v29
	v_fmamk_f16 v42, v30, 0x3abb, v31
	v_fmamk_f16 v45, v30, 0xb93d, v38
	v_fma_f16 v38, v30, 0xb93d, -v38
	v_add_f16_e32 v28, v28, v9
	v_fmamk_f16 v46, v30, 0xbbad, v32
	v_fmamk_f16 v47, v35, 0xb93d, v40
	v_add_f16_e32 v37, v11, v37
	v_sub_f16_e32 v24, v24, v25
	v_add_f16_e32 v28, v28, v19
	v_fma_f16 v31, v30, 0x3abb, -v31
	v_fma_f16 v30, v30, 0xbbad, -v32
	v_fmamk_f16 v32, v35, 0x36a6, v39
	v_add_f16_e32 v42, v11, v42
	v_add_f16_e32 v28, v28, v23
	;; [unrolled: 1-line block ×3, first 2 shown]
	v_mul_f16_e32 v23, 0xbbeb, v24
	v_fma_f16 v39, v35, 0x36a6, -v39
	v_add_f16_e32 v31, v11, v31
	v_add_f16_e32 v26, v28, v26
	;; [unrolled: 1-line block ×7, first 2 shown]
	v_fma_f16 v27, v35, 0xb93d, -v40
	v_fma_f16 v40, v35, 0xbbad, -v41
	v_add_f16_e32 v45, v11, v45
	v_add_f16_e32 v11, v11, v30
	;; [unrolled: 1-line block ×4, first 2 shown]
	v_mul_f16_e32 v36, 0x3beb, v29
	v_mul_f16_e32 v29, 0x3853, v29
	v_add_f16_e32 v37, v40, v37
	v_fmamk_f16 v32, v35, 0xbbad, v41
	v_add_f16_e32 v31, v39, v31
	v_fmamk_f16 v25, v35, 0xb08e, v36
	v_fma_f16 v36, v35, 0xb08e, -v36
	v_fmamk_f16 v40, v35, 0x3abb, v29
	v_fma_f16 v29, v35, 0x3abb, -v29
	v_add_f16_e32 v32, v32, v44
	v_sub_f16_e32 v20, v20, v21
	v_add_f16_e32 v28, v36, v28
	v_add_f16_e32 v35, v40, v38
	v_fmamk_f16 v36, v22, 0xb08e, v23
	v_mul_f16_e32 v38, 0x3482, v24
	v_add_f16_e32 v11, v29, v11
	v_fma_f16 v23, v22, 0xb08e, -v23
	v_mul_f16_e32 v29, 0x3b47, v24
	v_add_f16_e32 v30, v36, v30
	v_fmamk_f16 v36, v22, 0xbbad, v38
	v_fma_f16 v38, v22, 0xbbad, -v38
	v_add_f16_e32 v23, v23, v31
	v_fmamk_f16 v31, v22, 0x36a6, v29
	v_add_f16_e32 v25, v25, v45
	v_fma_f16 v29, v22, 0x36a6, -v29
	v_add_f16_e32 v27, v38, v27
	v_mul_f16_e32 v38, 0xb853, v24
	v_add_f16_e32 v31, v31, v32
	v_mul_f16_e32 v21, 0xba0c, v24
	;; [unrolled: 2-line block ×3, first 2 shown]
	v_fmamk_f16 v24, v22, 0x3abb, v38
	v_fma_f16 v32, v22, 0x3abb, -v38
	v_add_f16_e32 v39, v47, v43
	v_add_f16_e32 v29, v29, v37
	v_fmamk_f16 v37, v22, 0xb93d, v21
	v_add_f16_e32 v24, v24, v25
	v_add_f16_e32 v25, v32, v28
	v_fma_f16 v21, v22, 0xb93d, -v21
	v_fmamk_f16 v22, v18, 0xb93d, v19
	v_mul_f16_e32 v32, 0x3beb, v20
	v_fma_f16 v19, v18, 0xb93d, -v19
	v_add_f16_e32 v36, v36, v39
	v_add_f16_e32 v11, v21, v11
	;; [unrolled: 1-line block ×3, first 2 shown]
	v_mul_f16_e32 v22, 0xb853, v20
	v_fmamk_f16 v30, v18, 0xb08e, v32
	v_add_f16_e32 v19, v19, v23
	v_mul_f16_e32 v23, 0xb482, v20
	v_mul_f16_e32 v20, 0x3b47, v20
	v_sub_f16_e32 v12, v12, v13
	v_add_f16_e32 v28, v37, v35
	v_fma_f16 v32, v18, 0xb08e, -v32
	v_fmamk_f16 v35, v18, 0x3abb, v22
	v_add_f16_e32 v30, v30, v36
	v_fma_f16 v22, v18, 0x3abb, -v22
	v_fmamk_f16 v36, v18, 0xbbad, v23
	v_fma_f16 v13, v18, 0xbbad, -v23
	v_fmamk_f16 v23, v18, 0x36a6, v20
	v_fma_f16 v18, v18, 0x36a6, -v20
	v_add_f16_e32 v8, v8, v9
	v_mul_f16_e32 v20, 0x3853, v12
	v_mul_f16_e32 v9, 0xb482, v12
	v_add_f16_e32 v27, v32, v27
	v_add_f16_e32 v13, v13, v25
	;; [unrolled: 1-line block ×3, first 2 shown]
	v_fmamk_f16 v25, v8, 0x3abb, v20
	v_fma_f16 v20, v8, 0x3abb, -v20
	v_add_f16_e32 v11, v18, v11
	v_fmamk_f16 v18, v8, 0xbbad, v9
	v_fma_f16 v9, v8, 0xbbad, -v9
	v_mul_f16_e32 v28, 0xba0c, v12
	v_mul_u32_u24_e32 v10, 0xb0, v10
	v_add_f16_e32 v20, v20, v27
	v_mul_f16_e32 v27, 0x3b47, v12
	v_add_f16_e32 v22, v22, v29
	v_add_f16_e32 v9, v9, v19
	v_add_f16_e32 v19, v25, v30
	v_fma_f16 v25, v8, 0xb93d, -v28
	v_mul_f16_e32 v12, 0xbbeb, v12
	v_or_b32_e32 v7, v10, v7
	v_add_f16_e32 v31, v35, v31
	v_add_f16_e32 v18, v18, v21
	v_fmamk_f16 v21, v8, 0xb93d, v28
	v_add_f16_e32 v24, v36, v24
	v_fmamk_f16 v10, v8, 0x36a6, v27
	v_add_f16_e32 v22, v25, v22
	v_fma_f16 v25, v8, 0x36a6, -v27
	v_fmamk_f16 v27, v8, 0xb08e, v12
	v_fma_f16 v8, v8, 0xb08e, -v12
	v_lshl_add_u32 v7, v7, 1, 0
	v_add_f16_e32 v21, v21, v31
	v_add_f16_e32 v10, v10, v24
	v_add_f16_e32 v12, v25, v13
	v_add_f16_e32 v13, v27, v23
	v_add_f16_e32 v8, v8, v11
	ds_write_b16 v7, v26
	ds_write_b16 v7, v18 offset:32
	ds_write_b16 v7, v19 offset:64
	ds_write_b16 v7, v21 offset:96
	ds_write_b16 v7, v10 offset:128
	ds_write_b16 v7, v13 offset:160
	ds_write_b16 v7, v8 offset:192
	ds_write_b16 v7, v12 offset:224
	ds_write_b16 v7, v22 offset:256
	ds_write_b16 v7, v20 offset:288
	ds_write_b16 v7, v9 offset:320
.LBB0_21:
	s_or_b32 exec_lo, exec_lo, s1
	s_waitcnt lgkmcnt(0)
	s_barrier
	buffer_gl0_inv
	s_and_saveexec_b32 s0, vcc_lo
	s_cbranch_execz .LBB0_23
; %bb.22:
	v_mul_u32_u24_e32 v4, 5, v4
	v_mad_u64_u32 v[11:12], null, s12, v3, 0
	v_add_nc_u32_e32 v28, 0xb0, v3
	v_add_nc_u32_e32 v29, 0x160, v3
	v_lshlrev_b32_e32 v4, 2, v4
	v_add_nc_u32_e32 v30, 0x210, v3
	v_add_nc_u32_e32 v31, 0x2c0, v3
	;; [unrolled: 1-line block ×3, first 2 shown]
	v_mad_u64_u32 v[18:19], null, s12, v28, 0
	s_clause 0x1
	global_load_dwordx4 v[7:10], v4, s[8:9] offset:696
	global_load_dword v32, v4, s[8:9] offset:712
	v_mad_u64_u32 v[20:21], null, s12, v29, 0
	v_mov_b32_e32 v4, v12
	v_mad_u64_u32 v[22:23], null, s12, v30, 0
	v_mad_u64_u32 v[24:25], null, s12, v31, 0
	;; [unrolled: 1-line block ×3, first 2 shown]
	ds_read_u16 v35, v2
	ds_read_u16 v34, v34
	;; [unrolled: 1-line block ×3, first 2 shown]
	ds_read_u16 v36, v2 offset:1760
	ds_read_u16 v38, v2 offset:1408
	;; [unrolled: 1-line block ×3, first 2 shown]
	v_mad_u64_u32 v[2:3], null, s13, v3, v[4:5]
	v_mov_b32_e32 v3, v19
	v_mov_b32_e32 v4, v21
	v_mov_b32_e32 v12, v23
	v_mov_b32_e32 v13, v25
	v_mov_b32_e32 v19, v27
	v_mad_u64_u32 v[27:28], null, s13, v28, v[3:4]
	v_mad_u64_u32 v[3:4], null, s13, v29, v[4:5]
	;; [unrolled: 1-line block ×3, first 2 shown]
	v_mov_b32_e32 v12, v2
	v_mad_u64_u32 v[29:30], null, s13, v31, v[13:14]
	v_mad_u64_u32 v[30:31], null, s13, v37, v[19:20]
	v_add_co_u32 v4, vcc_lo, s2, v0
	v_mov_b32_e32 v19, v27
	v_add_co_ci_u32_e32 v13, vcc_lo, s3, v1, vcc_lo
	v_lshlrev_b64 v[0:1], 2, v[11:12]
	v_mov_b32_e32 v21, v3
	v_lshlrev_b64 v[2:3], 2, v[18:19]
	v_mov_b32_e32 v23, v28
	v_mov_b32_e32 v25, v29
	;; [unrolled: 1-line block ×3, first 2 shown]
	v_lshlrev_b64 v[11:12], 2, v[20:21]
	v_add_co_u32 v0, vcc_lo, v4, v0
	v_add_co_ci_u32_e32 v1, vcc_lo, v13, v1, vcc_lo
	v_lshlrev_b64 v[18:19], 2, v[22:23]
	v_add_co_u32 v2, vcc_lo, v4, v2
	v_add_co_ci_u32_e32 v3, vcc_lo, v13, v3, vcc_lo
	;; [unrolled: 3-line block ×4, first 2 shown]
	v_add_co_u32 v20, vcc_lo, v4, v20
	v_add_co_ci_u32_e32 v21, vcc_lo, v13, v21, vcc_lo
	v_add_co_u32 v22, vcc_lo, v4, v22
	v_add_co_ci_u32_e32 v23, vcc_lo, v13, v23, vcc_lo
	s_waitcnt vmcnt(1) lgkmcnt(4)
	v_mul_f16_sdwa v4, v34, v8 dst_sel:DWORD dst_unused:UNUSED_PAD src0_sel:DWORD src1_sel:WORD_1
	s_waitcnt lgkmcnt(1)
	v_mul_f16_sdwa v13, v38, v10 dst_sel:DWORD dst_unused:UNUSED_PAD src0_sel:DWORD src1_sel:WORD_1
	v_mul_f16_sdwa v24, v17, v8 dst_sel:DWORD dst_unused:UNUSED_PAD src0_sel:DWORD src1_sel:WORD_1
	;; [unrolled: 1-line block ×3, first 2 shown]
	s_waitcnt lgkmcnt(0)
	v_mul_f16_sdwa v27, v39, v9 dst_sel:DWORD dst_unused:UNUSED_PAD src0_sel:DWORD src1_sel:WORD_1
	s_waitcnt vmcnt(0)
	v_mul_f16_sdwa v28, v36, v32 dst_sel:DWORD dst_unused:UNUSED_PAD src0_sel:DWORD src1_sel:WORD_1
	v_mul_f16_sdwa v29, v14, v9 dst_sel:DWORD dst_unused:UNUSED_PAD src0_sel:DWORD src1_sel:WORD_1
	;; [unrolled: 1-line block ×5, first 2 shown]
	v_fma_f16 v4, v17, v8, -v4
	v_fma_f16 v13, v16, v10, -v13
	v_fmac_f16_e32 v24, v8, v34
	v_fmac_f16_e32 v25, v10, v38
	v_fma_f16 v8, v14, v9, -v27
	v_fma_f16 v10, v15, v32, -v28
	v_fmac_f16_e32 v29, v9, v39
	v_fmac_f16_e32 v30, v32, v36
	v_fma_f16 v6, v6, v7, -v26
	v_fmac_f16_e32 v31, v7, v33
	v_add_f16_e32 v14, v8, v10
	v_sub_f16_e32 v7, v4, v13
	v_add_f16_e32 v17, v29, v30
	v_sub_f16_e32 v15, v29, v30
	v_sub_f16_e32 v16, v8, v10
	v_add_f16_e32 v26, v24, v35
	v_add_f16_e32 v28, v4, v13
	;; [unrolled: 1-line block ×4, first 2 shown]
	v_fma_f16 v6, -0.5, v14, v6
	v_fma_f16 v14, -0.5, v17, v31
	v_add_f16_e32 v9, v24, v25
	v_add_f16_e32 v27, v31, v29
	v_sub_f16_e32 v24, v24, v25
	v_add_f16_e32 v17, v25, v26
	v_fma_f16 v5, -0.5, v28, v5
	v_add_f16_e32 v4, v4, v13
	v_add_f16_e32 v8, v8, v10
	v_fmamk_f16 v13, v15, 0xbaee, v6
	v_fmamk_f16 v26, v16, 0x3aee, v14
	v_fmac_f16_e32 v14, 0xbaee, v16
	v_fmac_f16_e32 v6, 0x3aee, v15
	v_fma_f16 v9, -0.5, v9, v35
	v_add_f16_e32 v25, v27, v30
	v_fmamk_f16 v15, v24, 0xbaee, v5
	v_fmac_f16_e32 v5, 0x3aee, v24
	v_sub_f16_e32 v16, v4, v8
	v_add_f16_e32 v4, v4, v8
	v_mul_f16_e32 v8, -0.5, v26
	v_mul_f16_e32 v24, 0xbaee, v6
	v_mul_f16_e32 v27, 0x3aee, v14
	v_fmamk_f16 v10, v7, 0x3aee, v9
	v_fmac_f16_e32 v9, 0xbaee, v7
	v_sub_f16_e32 v7, v17, v25
	v_add_f16_e32 v17, v17, v25
	v_mul_f16_e32 v25, -0.5, v13
	v_fmac_f16_e32 v8, 0xbaee, v13
	v_fmac_f16_e32 v24, 0.5, v14
	v_fmac_f16_e32 v27, 0.5, v6
	v_pack_b32_f16 v4, v4, v17
	v_fmac_f16_e32 v25, 0x3aee, v26
	v_sub_f16_e32 v6, v10, v8
	v_add_f16_e32 v8, v10, v8
	v_add_f16_e32 v10, v9, v24
	;; [unrolled: 1-line block ×4, first 2 shown]
	v_sub_f16_e32 v9, v9, v24
	v_sub_f16_e32 v5, v5, v27
	;; [unrolled: 1-line block ×3, first 2 shown]
	v_pack_b32_f16 v10, v13, v10
	v_pack_b32_f16 v8, v14, v8
	;; [unrolled: 1-line block ×3, first 2 shown]
	global_store_dword v[0:1], v4, off
	v_pack_b32_f16 v0, v5, v9
	v_pack_b32_f16 v1, v15, v6
	global_store_dword v[2:3], v10, off
	global_store_dword v[11:12], v8, off
	;; [unrolled: 1-line block ×5, first 2 shown]
.LBB0_23:
	s_endpgm
	.section	.rodata,"a",@progbits
	.p2align	6, 0x0
	.amdhsa_kernel fft_rtc_fwd_len1056_factors_2_2_2_2_11_6_wgs_176_tpt_176_halfLds_half_ip_CI_sbrr_dirReg
		.amdhsa_group_segment_fixed_size 0
		.amdhsa_private_segment_fixed_size 0
		.amdhsa_kernarg_size 88
		.amdhsa_user_sgpr_count 6
		.amdhsa_user_sgpr_private_segment_buffer 1
		.amdhsa_user_sgpr_dispatch_ptr 0
		.amdhsa_user_sgpr_queue_ptr 0
		.amdhsa_user_sgpr_kernarg_segment_ptr 1
		.amdhsa_user_sgpr_dispatch_id 0
		.amdhsa_user_sgpr_flat_scratch_init 0
		.amdhsa_user_sgpr_private_segment_size 0
		.amdhsa_wavefront_size32 1
		.amdhsa_uses_dynamic_stack 0
		.amdhsa_system_sgpr_private_segment_wavefront_offset 0
		.amdhsa_system_sgpr_workgroup_id_x 1
		.amdhsa_system_sgpr_workgroup_id_y 0
		.amdhsa_system_sgpr_workgroup_id_z 0
		.amdhsa_system_sgpr_workgroup_info 0
		.amdhsa_system_vgpr_workitem_id 0
		.amdhsa_next_free_vgpr 63
		.amdhsa_next_free_sgpr 23
		.amdhsa_reserve_vcc 1
		.amdhsa_reserve_flat_scratch 0
		.amdhsa_float_round_mode_32 0
		.amdhsa_float_round_mode_16_64 0
		.amdhsa_float_denorm_mode_32 3
		.amdhsa_float_denorm_mode_16_64 3
		.amdhsa_dx10_clamp 1
		.amdhsa_ieee_mode 1
		.amdhsa_fp16_overflow 0
		.amdhsa_workgroup_processor_mode 1
		.amdhsa_memory_ordered 1
		.amdhsa_forward_progress 0
		.amdhsa_shared_vgpr_count 0
		.amdhsa_exception_fp_ieee_invalid_op 0
		.amdhsa_exception_fp_denorm_src 0
		.amdhsa_exception_fp_ieee_div_zero 0
		.amdhsa_exception_fp_ieee_overflow 0
		.amdhsa_exception_fp_ieee_underflow 0
		.amdhsa_exception_fp_ieee_inexact 0
		.amdhsa_exception_int_div_zero 0
	.end_amdhsa_kernel
	.text
.Lfunc_end0:
	.size	fft_rtc_fwd_len1056_factors_2_2_2_2_11_6_wgs_176_tpt_176_halfLds_half_ip_CI_sbrr_dirReg, .Lfunc_end0-fft_rtc_fwd_len1056_factors_2_2_2_2_11_6_wgs_176_tpt_176_halfLds_half_ip_CI_sbrr_dirReg
                                        ; -- End function
	.section	.AMDGPU.csdata,"",@progbits
; Kernel info:
; codeLenInByte = 7180
; NumSgprs: 25
; NumVgprs: 63
; ScratchSize: 0
; MemoryBound: 0
; FloatMode: 240
; IeeeMode: 1
; LDSByteSize: 0 bytes/workgroup (compile time only)
; SGPRBlocks: 3
; VGPRBlocks: 7
; NumSGPRsForWavesPerEU: 25
; NumVGPRsForWavesPerEU: 63
; Occupancy: 15
; WaveLimiterHint : 1
; COMPUTE_PGM_RSRC2:SCRATCH_EN: 0
; COMPUTE_PGM_RSRC2:USER_SGPR: 6
; COMPUTE_PGM_RSRC2:TRAP_HANDLER: 0
; COMPUTE_PGM_RSRC2:TGID_X_EN: 1
; COMPUTE_PGM_RSRC2:TGID_Y_EN: 0
; COMPUTE_PGM_RSRC2:TGID_Z_EN: 0
; COMPUTE_PGM_RSRC2:TIDIG_COMP_CNT: 0
	.text
	.p2alignl 6, 3214868480
	.fill 48, 4, 3214868480
	.type	__hip_cuid_d9dbfbf824fabc88,@object ; @__hip_cuid_d9dbfbf824fabc88
	.section	.bss,"aw",@nobits
	.globl	__hip_cuid_d9dbfbf824fabc88
__hip_cuid_d9dbfbf824fabc88:
	.byte	0                               ; 0x0
	.size	__hip_cuid_d9dbfbf824fabc88, 1

	.ident	"AMD clang version 19.0.0git (https://github.com/RadeonOpenCompute/llvm-project roc-6.4.0 25133 c7fe45cf4b819c5991fe208aaa96edf142730f1d)"
	.section	".note.GNU-stack","",@progbits
	.addrsig
	.addrsig_sym __hip_cuid_d9dbfbf824fabc88
	.amdgpu_metadata
---
amdhsa.kernels:
  - .args:
      - .actual_access:  read_only
        .address_space:  global
        .offset:         0
        .size:           8
        .value_kind:     global_buffer
      - .offset:         8
        .size:           8
        .value_kind:     by_value
      - .actual_access:  read_only
        .address_space:  global
        .offset:         16
        .size:           8
        .value_kind:     global_buffer
      - .actual_access:  read_only
        .address_space:  global
        .offset:         24
        .size:           8
        .value_kind:     global_buffer
      - .offset:         32
        .size:           8
        .value_kind:     by_value
      - .actual_access:  read_only
        .address_space:  global
        .offset:         40
        .size:           8
        .value_kind:     global_buffer
      - .actual_access:  read_only
        .address_space:  global
        .offset:         48
        .size:           8
        .value_kind:     global_buffer
      - .offset:         56
        .size:           4
        .value_kind:     by_value
      - .actual_access:  read_only
        .address_space:  global
        .offset:         64
        .size:           8
        .value_kind:     global_buffer
      - .actual_access:  read_only
        .address_space:  global
        .offset:         72
        .size:           8
        .value_kind:     global_buffer
      - .address_space:  global
        .offset:         80
        .size:           8
        .value_kind:     global_buffer
    .group_segment_fixed_size: 0
    .kernarg_segment_align: 8
    .kernarg_segment_size: 88
    .language:       OpenCL C
    .language_version:
      - 2
      - 0
    .max_flat_workgroup_size: 176
    .name:           fft_rtc_fwd_len1056_factors_2_2_2_2_11_6_wgs_176_tpt_176_halfLds_half_ip_CI_sbrr_dirReg
    .private_segment_fixed_size: 0
    .sgpr_count:     25
    .sgpr_spill_count: 0
    .symbol:         fft_rtc_fwd_len1056_factors_2_2_2_2_11_6_wgs_176_tpt_176_halfLds_half_ip_CI_sbrr_dirReg.kd
    .uniform_work_group_size: 1
    .uses_dynamic_stack: false
    .vgpr_count:     63
    .vgpr_spill_count: 0
    .wavefront_size: 32
    .workgroup_processor_mode: 1
amdhsa.target:   amdgcn-amd-amdhsa--gfx1030
amdhsa.version:
  - 1
  - 2
...

	.end_amdgpu_metadata
